;; amdgpu-corpus repo=ROCm/rocFFT kind=compiled arch=gfx1201 opt=O3
	.text
	.amdgcn_target "amdgcn-amd-amdhsa--gfx1201"
	.amdhsa_code_object_version 6
	.protected	bluestein_single_back_len160_dim1_dp_op_CI_CI ; -- Begin function bluestein_single_back_len160_dim1_dp_op_CI_CI
	.globl	bluestein_single_back_len160_dim1_dp_op_CI_CI
	.p2align	8
	.type	bluestein_single_back_len160_dim1_dp_op_CI_CI,@function
bluestein_single_back_len160_dim1_dp_op_CI_CI: ; @bluestein_single_back_len160_dim1_dp_op_CI_CI
; %bb.0:
	s_load_b128 s[8:11], s[0:1], 0x28
	v_lshrrev_b32_e32 v1, 4, v0
	v_mov_b32_e32 v101, 0
	s_mov_b32 s2, exec_lo
	s_delay_alu instid0(VALU_DEP_2) | instskip(SKIP_1) | instid1(VALU_DEP_1)
	v_lshl_or_b32 v100, ttmp9, 4, v1
	s_wait_kmcnt 0x0
	v_cmpx_gt_u64_e64 s[8:9], v[100:101]
	s_cbranch_execz .LBB0_15
; %bb.1:
	s_clause 0x1
	s_load_b64 s[8:9], s[0:1], 0x0
	s_load_b64 s[12:13], s[0:1], 0x38
	v_and_b32_e32 v102, 15, v0
	v_mul_u32_u24_e32 v103, 0xa0, v1
	s_delay_alu instid0(VALU_DEP_2) | instskip(SKIP_1) | instid1(VALU_DEP_3)
	v_cmp_gt_u32_e32 vcc_lo, 10, v102
	v_lshlrev_b32_e32 v101, 4, v102
	v_or_b32_e32 v72, v103, v102
	v_add_lshl_u32 v50, v103, v102, 4
	s_and_saveexec_b32 s3, vcc_lo
	s_cbranch_execz .LBB0_3
; %bb.2:
	s_load_b64 s[4:5], s[0:1], 0x18
	s_wait_kmcnt 0x0
	s_load_b128 s[4:7], s[4:5], 0x0
	s_wait_kmcnt 0x0
	v_mad_co_u64_u32 v[8:9], null, s6, v100, 0
	v_mad_co_u64_u32 v[24:25], null, s4, v102, 0
	s_delay_alu instid0(VALU_DEP_1) | instskip(NEXT) | instid1(VALU_DEP_1)
	v_dual_mov_b32 v0, v9 :: v_dual_mov_b32 v1, v25
	v_mad_co_u64_u32 v[2:3], null, s7, v100, v[0:1]
	s_delay_alu instid0(VALU_DEP_1)
	v_mad_co_u64_u32 v[10:11], null, s5, v102, v[1:2]
	v_mov_b32_e32 v9, v2
	s_mul_u64 s[4:5], s[4:5], 0xa0
	s_clause 0x1
	global_load_b128 v[0:3], v101, s[8:9]
	global_load_b128 v[4:7], v101, s[8:9] offset:160
	v_lshlrev_b64_e32 v[26:27], 4, v[8:9]
	v_mov_b32_e32 v25, v10
	s_clause 0x3
	global_load_b128 v[8:11], v101, s[8:9] offset:320
	global_load_b128 v[12:15], v101, s[8:9] offset:480
	;; [unrolled: 1-line block ×4, first 2 shown]
	v_add_co_u32 v34, s2, s10, v26
	v_lshlrev_b64_e32 v[32:33], 4, v[24:25]
	v_add_co_ci_u32_e64 v35, s2, s11, v27, s2
	s_clause 0x1
	global_load_b128 v[24:27], v101, s[8:9] offset:960
	global_load_b128 v[28:31], v101, s[8:9] offset:1120
	v_add_co_u32 v48, s2, v34, v32
	s_wait_alu 0xf1ff
	v_add_co_ci_u32_e64 v49, s2, v35, v33, s2
	s_clause 0x1
	global_load_b128 v[32:35], v101, s[8:9] offset:1280
	global_load_b128 v[36:39], v101, s[8:9] offset:1440
	s_wait_alu 0xfffe
	v_add_co_u32 v63, s2, v48, s4
	s_wait_alu 0xf1ff
	v_add_co_ci_u32_e64 v64, s2, s5, v49, s2
	s_clause 0x1
	global_load_b128 v[40:43], v101, s[8:9] offset:1600
	global_load_b128 v[44:47], v101, s[8:9] offset:1760
	v_add_co_u32 v67, s2, v63, s4
	s_wait_alu 0xf1ff
	v_add_co_ci_u32_e64 v68, s2, s5, v64, s2
	s_clause 0x1
	global_load_b128 v[51:54], v101, s[8:9] offset:1920
	global_load_b128 v[55:58], v101, s[8:9] offset:2080
	v_add_co_u32 v73, s2, v67, s4
	s_wait_alu 0xf1ff
	v_add_co_ci_u32_e64 v74, s2, s5, v68, s2
	s_clause 0x1
	global_load_b128 v[59:62], v[48:49], off
	global_load_b128 v[63:66], v[63:64], off
	v_add_co_u32 v77, s2, v73, s4
	s_wait_alu 0xf1ff
	v_add_co_ci_u32_e64 v78, s2, s5, v74, s2
	s_clause 0x1
	global_load_b128 v[67:70], v[67:68], off
	global_load_b128 v[73:76], v[73:74], off
	v_add_co_u32 v48, s2, v77, s4
	s_wait_alu 0xf1ff
	v_add_co_ci_u32_e64 v49, s2, s5, v78, s2
	global_load_b128 v[77:80], v[77:78], off
	v_add_co_u32 v85, s2, v48, s4
	s_wait_alu 0xf1ff
	v_add_co_ci_u32_e64 v86, s2, s5, v49, s2
	;; [unrolled: 4-line block ×10, first 2 shown]
	s_delay_alu instid0(VALU_DEP_2) | instskip(SKIP_1) | instid1(VALU_DEP_2)
	v_add_co_u32 v97, s2, v48, s4
	s_wait_alu 0xf1ff
	v_add_co_ci_u32_e64 v98, s2, s5, v49, s2
	global_load_b128 v[120:123], v[120:121], off
	global_load_b128 v[124:127], v[48:49], off
	s_clause 0x1
	global_load_b128 v[128:131], v101, s[8:9] offset:2240
	global_load_b128 v[132:135], v101, s[8:9] offset:2400
	global_load_b128 v[136:139], v[97:98], off
	s_wait_loadcnt 0x11
	v_mul_f64_e32 v[48:49], v[61:62], v[2:3]
	v_mul_f64_e32 v[2:3], v[59:60], v[2:3]
	s_wait_loadcnt 0x10
	v_mul_f64_e32 v[97:98], v[65:66], v[6:7]
	v_mul_f64_e32 v[6:7], v[63:64], v[6:7]
	;; [unrolled: 3-line block ×12, first 2 shown]
	v_fma_f64 v[46:47], v[59:60], v[0:1], v[48:49]
	v_fma_f64 v[48:49], v[61:62], v[0:1], -v[2:3]
	v_fma_f64 v[0:1], v[63:64], v[4:5], v[97:98]
	s_wait_loadcnt 0x5
	v_mul_f64_e32 v[162:163], v[118:119], v[53:54]
	v_mul_f64_e32 v[53:54], v[116:117], v[53:54]
	v_fma_f64 v[2:3], v[65:66], v[4:5], -v[6:7]
	v_fma_f64 v[4:5], v[67:68], v[8:9], v[140:141]
	v_fma_f64 v[6:7], v[69:70], v[8:9], -v[10:11]
	v_fma_f64 v[8:9], v[73:74], v[12:13], v[142:143]
	s_wait_loadcnt 0x4
	v_mul_f64_e32 v[164:165], v[122:123], v[57:58]
	v_mul_f64_e32 v[166:167], v[120:121], v[57:58]
	s_wait_loadcnt 0x2
	v_mul_f64_e32 v[168:169], v[126:127], v[130:131]
	v_mul_f64_e32 v[130:131], v[124:125], v[130:131]
	;; [unrolled: 3-line block ×3, first 2 shown]
	v_fma_f64 v[10:11], v[75:76], v[12:13], -v[14:15]
	v_fma_f64 v[12:13], v[77:78], v[16:17], v[144:145]
	v_fma_f64 v[14:15], v[79:80], v[16:17], -v[18:19]
	v_fma_f64 v[16:17], v[81:82], v[20:21], v[146:147]
	;; [unrolled: 2-line block ×8, first 2 shown]
	v_fma_f64 v[42:43], v[114:115], v[44:45], -v[160:161]
	v_lshlrev_b32_e32 v44, 4, v72
	v_lshl_add_u32 v45, v103, 4, v101
	v_fma_f64 v[57:58], v[116:117], v[51:52], v[162:163]
	v_fma_f64 v[59:60], v[118:119], v[51:52], -v[53:54]
	v_fma_f64 v[51:52], v[120:121], v[55:56], v[164:165]
	v_fma_f64 v[53:54], v[122:123], v[55:56], -v[166:167]
	;; [unrolled: 2-line block ×4, first 2 shown]
	ds_store_b128 v44, v[46:49]
	ds_store_b128 v50, v[0:3] offset:160
	ds_store_b128 v45, v[4:7] offset:320
	;; [unrolled: 1-line block ×15, first 2 shown]
.LBB0_3:
	s_or_b32 exec_lo, exec_lo, s3
	s_load_b64 s[2:3], s[0:1], 0x20
	v_lshlrev_b32_e32 v105, 4, v103
	global_wb scope:SCOPE_SE
	s_wait_dscnt 0x0
	s_wait_kmcnt 0x0
	s_barrier_signal -1
	s_barrier_wait -1
	global_inv scope:SCOPE_SE
                                        ; implicit-def: $vgpr0_vgpr1
                                        ; implicit-def: $vgpr20_vgpr21
                                        ; implicit-def: $vgpr28_vgpr29
                                        ; implicit-def: $vgpr56_vgpr57
                                        ; implicit-def: $vgpr60_vgpr61
                                        ; implicit-def: $vgpr44_vgpr45
                                        ; implicit-def: $vgpr52_vgpr53
                                        ; implicit-def: $vgpr36_vgpr37
                                        ; implicit-def: $vgpr40_vgpr41
                                        ; implicit-def: $vgpr32_vgpr33
                                        ; implicit-def: $vgpr16_vgpr17
                                        ; implicit-def: $vgpr12_vgpr13
                                        ; implicit-def: $vgpr24_vgpr25
                                        ; implicit-def: $vgpr4_vgpr5
                                        ; implicit-def: $vgpr8_vgpr9
                                        ; implicit-def: $vgpr48_vgpr49
	s_and_saveexec_b32 s4, vcc_lo
	s_cbranch_execz .LBB0_5
; %bb.4:
	v_lshlrev_b32_e32 v0, 4, v72
	v_lshl_add_u32 v56, v102, 4, v105
	ds_load_b128 v[0:3], v0
	ds_load_b128 v[8:11], v56 offset:320
	ds_load_b128 v[4:7], v56 offset:480
	;; [unrolled: 1-line block ×15, first 2 shown]
.LBB0_5:
	s_wait_alu 0xfffe
	s_or_b32 exec_lo, exec_lo, s4
	s_wait_dscnt 0x8
	v_add_f64_e64 v[32:33], v[0:1], -v[32:33]
	v_add_f64_e64 v[34:35], v[2:3], -v[34:35]
	s_wait_dscnt 0x4
	v_add_f64_e64 v[52:53], v[24:25], -v[52:53]
	v_add_f64_e64 v[54:55], v[26:27], -v[54:55]
	;; [unrolled: 1-line block ×4, first 2 shown]
	s_wait_dscnt 0x2
	v_add_f64_e64 v[60:61], v[20:21], -v[60:61]
	v_add_f64_e64 v[62:63], v[22:23], -v[62:63]
	s_wait_dscnt 0x1
	v_add_f64_e64 v[28:29], v[48:49], -v[28:29]
	v_add_f64_e64 v[30:31], v[50:51], -v[30:31]
	;; [unrolled: 1-line block ×6, first 2 shown]
	s_wait_dscnt 0x0
	v_add_f64_e64 v[58:59], v[18:19], -v[58:59]
	v_add_f64_e64 v[56:57], v[16:17], -v[56:57]
	s_mov_b32 s14, 0x667f3bcd
	s_mov_b32 s15, 0xbfe6a09e
	;; [unrolled: 1-line block ×10, first 2 shown]
	s_wait_alu 0xfffe
	s_mov_b32 s18, s6
	s_mov_b32 s10, s4
	s_load_b64 s[0:1], s[0:1], 0x8
	global_wb scope:SCOPE_SE
	s_wait_kmcnt 0x0
	s_barrier_signal -1
	s_barrier_wait -1
	global_inv scope:SCOPE_SE
	v_fma_f64 v[64:65], v[0:1], 2.0, -v[32:33]
	v_fma_f64 v[66:67], v[2:3], 2.0, -v[34:35]
	;; [unrolled: 1-line block ×8, first 2 shown]
	v_add_f64_e64 v[20:21], v[32:33], -v[54:55]
	v_add_f64_e32 v[52:53], v[34:35], v[52:53]
	v_fma_f64 v[22:23], v[48:49], 2.0, -v[28:29]
	v_fma_f64 v[48:49], v[50:51], 2.0, -v[30:31]
	v_add_f64_e64 v[26:27], v[40:41], -v[62:63]
	v_add_f64_e32 v[50:51], v[60:61], v[42:43]
	v_fma_f64 v[12:13], v[12:13], 2.0, -v[44:45]
	v_fma_f64 v[14:15], v[14:15], 2.0, -v[46:47]
	v_add_f64_e64 v[46:47], v[28:29], -v[46:47]
	v_add_f64_e32 v[44:45], v[44:45], v[30:31]
	v_fma_f64 v[54:55], v[4:5], 2.0, -v[36:37]
	v_fma_f64 v[60:61], v[6:7], 2.0, -v[38:39]
	v_fma_f64 v[4:5], v[18:19], 2.0, -v[58:59]
	v_fma_f64 v[16:17], v[16:17], 2.0, -v[56:57]
	v_add_f64_e64 v[18:19], v[36:37], -v[58:59]
	v_add_f64_e32 v[56:57], v[56:57], v[38:39]
	v_add_f64_e64 v[58:59], v[64:65], -v[0:1]
	v_add_f64_e64 v[62:63], v[66:67], -v[2:3]
	;; [unrolled: 1-line block ×3, first 2 shown]
	v_fma_f64 v[0:1], v[32:33], 2.0, -v[20:21]
	v_fma_f64 v[6:7], v[34:35], 2.0, -v[52:53]
	v_add_f64_e64 v[34:35], v[24:25], -v[8:9]
	v_fma_f64 v[40:41], v[40:41], 2.0, -v[26:27]
	v_fma_f64 v[42:43], v[42:43], 2.0, -v[50:51]
	v_add_f64_e64 v[73:74], v[22:23], -v[12:13]
	v_add_f64_e64 v[75:76], v[48:49], -v[14:15]
	v_fma_f64 v[8:9], v[28:29], 2.0, -v[46:47]
	v_fma_f64 v[12:13], v[30:31], 2.0, -v[44:45]
	v_fma_f64 v[14:15], v[26:27], s[16:17], v[20:21]
	v_fma_f64 v[28:29], v[50:51], s[16:17], v[52:53]
	v_add_f64_e64 v[77:78], v[60:61], -v[4:5]
	v_add_f64_e64 v[16:17], v[54:55], -v[16:17]
	v_fma_f64 v[30:31], v[18:19], s[16:17], v[46:47]
	v_fma_f64 v[32:33], v[56:57], s[16:17], v[44:45]
	v_fma_f64 v[36:37], v[36:37], 2.0, -v[18:19]
	v_fma_f64 v[38:39], v[38:39], 2.0, -v[56:57]
	v_add_f64_e64 v[2:3], v[58:59], -v[70:71]
	v_fma_f64 v[68:69], v[68:69], 2.0, -v[70:71]
	v_add_f64_e32 v[10:11], v[62:63], v[34:35]
	v_fma_f64 v[91:92], v[24:25], 2.0, -v[34:35]
	v_fma_f64 v[79:80], v[40:41], s[14:15], v[0:1]
	v_fma_f64 v[81:82], v[42:43], s[14:15], v[6:7]
	v_fma_f64 v[34:35], v[48:49], 2.0, -v[75:76]
	v_fma_f64 v[4:5], v[50:51], s[14:15], v[14:15]
	v_fma_f64 v[14:15], v[26:27], s[16:17], v[28:29]
	v_add_f64_e64 v[50:51], v[73:74], -v[77:78]
	v_add_f64_e32 v[83:84], v[16:17], v[75:76]
	v_fma_f64 v[85:86], v[56:57], s[14:15], v[30:31]
	v_fma_f64 v[87:88], v[18:19], s[16:17], v[32:33]
	;; [unrolled: 1-line block ×4, first 2 shown]
	v_fma_f64 v[26:27], v[64:65], 2.0, -v[58:59]
	v_fma_f64 v[32:33], v[66:67], 2.0, -v[62:63]
	;; [unrolled: 1-line block ×7, first 2 shown]
	v_fma_f64 v[16:17], v[42:43], s[14:15], v[79:80]
	v_fma_f64 v[24:25], v[40:41], s[16:17], v[81:82]
	v_fma_f64 v[20:21], v[20:21], 2.0, -v[4:5]
	v_fma_f64 v[28:29], v[52:53], 2.0, -v[14:15]
	v_fma_f64 v[40:41], v[73:74], 2.0, -v[50:51]
	v_fma_f64 v[42:43], v[75:76], 2.0, -v[83:84]
	v_fma_f64 v[73:74], v[46:47], 2.0, -v[85:86]
	v_fma_f64 v[75:76], v[44:45], 2.0, -v[87:88]
	v_fma_f64 v[64:65], v[38:39], s[14:15], v[56:57]
	v_fma_f64 v[66:67], v[36:37], s[16:17], v[89:90]
	v_add_f64_e64 v[60:61], v[26:27], -v[91:92]
	v_add_f64_e64 v[62:63], v[32:33], -v[68:69]
	v_fma_f64 v[44:45], v[50:51], s[16:17], v[2:3]
	v_add_f64_e64 v[68:69], v[30:31], -v[48:49]
	v_add_f64_e64 v[70:71], v[34:35], -v[54:55]
	v_fma_f64 v[46:47], v[83:84], s[16:17], v[10:11]
	v_fma_f64 v[48:49], v[85:86], s[18:19], v[4:5]
	;; [unrolled: 1-line block ×10, first 2 shown]
	v_add_f64_e32 v[38:39], v[62:63], v[68:69]
	v_add_f64_e64 v[36:37], v[60:61], -v[70:71]
	v_fma_f64 v[58:59], v[50:51], s[16:17], v[46:47]
	v_fma_f64 v[52:53], v[87:88], s[4:5], v[48:49]
	;; [unrolled: 1-line block ×9, first 2 shown]
	s_and_saveexec_b32 s14, vcc_lo
	s_cbranch_execz .LBB0_7
; %bb.6:
	v_fma_f64 v[81:82], v[6:7], 2.0, -v[24:25]
	v_fma_f64 v[12:13], v[12:13], 2.0, -v[66:67]
	;; [unrolled: 1-line block ×14, first 2 shown]
	v_fma_f64 v[30:31], v[12:13], s[6:7], v[81:82]
	v_fma_f64 v[66:67], v[64:65], s[6:7], v[83:84]
	v_add_f64_e64 v[8:9], v[0:1], -v[6:7]
	v_add_f64_e64 v[6:7], v[34:35], -v[26:27]
	v_fma_f64 v[26:27], v[10:11], 2.0, -v[58:59]
	v_fma_f64 v[10:11], v[4:5], 2.0, -v[52:53]
	v_add_lshl_u32 v4, v103, v101, 4
	v_fma_f64 v[32:33], v[64:65], s[10:11], v[30:31]
	v_fma_f64 v[64:65], v[24:25], 2.0, -v[50:51]
	v_fma_f64 v[30:31], v[12:13], s[4:5], v[66:67]
	v_fma_f64 v[66:67], v[60:61], 2.0, -v[36:37]
	v_fma_f64 v[24:25], v[2:3], 2.0, -v[56:57]
	;; [unrolled: 1-line block ×7, first 2 shown]
	ds_store_b128 v4, v[44:47] offset:160
	ds_store_b128 v4, v[40:43] offset:176
	;; [unrolled: 1-line block ×12, first 2 shown]
	ds_store_b128 v4, v[0:3]
	ds_store_b128 v4, v[14:17] offset:16
	ds_store_b128 v4, v[56:59] offset:224
	;; [unrolled: 1-line block ×3, first 2 shown]
.LBB0_7:
	s_wait_alu 0xfffe
	s_or_b32 exec_lo, exec_lo, s14
	v_mad_co_u64_u32 v[4:5], null, 0x90, v102, s[0:1]
	s_load_b128 s[0:3], s[2:3], 0x0
	global_wb scope:SCOPE_SE
	s_wait_dscnt 0x0
	s_wait_kmcnt 0x0
	s_barrier_signal -1
	s_barrier_wait -1
	global_inv scope:SCOPE_SE
	v_lshlrev_b32_e32 v104, 4, v72
	s_clause 0x8
	global_load_b128 v[20:23], v[4:5], off offset:32
	global_load_b128 v[28:31], v[4:5], off offset:64
	;; [unrolled: 1-line block ×4, first 2 shown]
	global_load_b128 v[0:3], v[4:5], off
	global_load_b128 v[16:19], v[4:5], off offset:16
	global_load_b128 v[12:15], v[4:5], off offset:48
	;; [unrolled: 1-line block ×4, first 2 shown]
	ds_load_b128 v[60:63], v104 offset:768
	ds_load_b128 v[64:67], v104 offset:1280
	;; [unrolled: 1-line block ×6, first 2 shown]
	s_mov_b32 s6, 0x134454ff
	s_mov_b32 s7, 0x3fee6f0e
	;; [unrolled: 1-line block ×3, first 2 shown]
	s_wait_alu 0xfffe
	s_mov_b32 s4, s6
	s_mov_b32 s14, 0x4755a5e
	;; [unrolled: 1-line block ×4, first 2 shown]
	s_wait_alu 0xfffe
	s_mov_b32 s10, s14
	s_mov_b32 s16, 0x372fe950
	;; [unrolled: 1-line block ×5, first 2 shown]
	v_lshl_add_u32 v105, v102, 4, v105
	s_wait_loadcnt_dscnt 0x805
	v_mul_f64_e32 v[84:85], v[62:63], v[22:23]
	v_mul_f64_e32 v[86:87], v[60:61], v[22:23]
	s_wait_loadcnt_dscnt 0x704
	v_mul_f64_e32 v[88:89], v[66:67], v[30:31]
	v_mul_f64_e32 v[90:91], v[64:65], v[30:31]
	s_wait_loadcnt_dscnt 0x603
	v_mul_f64_e32 v[92:93], v[68:69], v[26:27]
	s_wait_loadcnt_dscnt 0x502
	v_mul_f64_e32 v[94:95], v[72:73], v[34:35]
	v_mul_f64_e32 v[96:97], v[74:75], v[34:35]
	;; [unrolled: 1-line block ×3, first 2 shown]
	s_wait_loadcnt_dscnt 0x401
	v_mul_f64_e32 v[106:107], v[78:79], v[2:3]
	v_mul_f64_e32 v[108:109], v[76:77], v[2:3]
	v_fma_f64 v[84:85], v[60:61], v[20:21], -v[84:85]
	v_fma_f64 v[86:87], v[62:63], v[20:21], v[86:87]
	v_fma_f64 v[88:89], v[64:65], v[28:29], -v[88:89]
	v_fma_f64 v[90:91], v[66:67], v[28:29], v[90:91]
	v_fma_f64 v[92:93], v[70:71], v[24:25], v[92:93]
	;; [unrolled: 1-line block ×3, first 2 shown]
	v_fma_f64 v[72:73], v[72:73], v[32:33], -v[96:97]
	v_fma_f64 v[94:95], v[68:69], v[24:25], -v[98:99]
	ds_load_b128 v[60:63], v104 offset:1024
	ds_load_b128 v[64:67], v104 offset:1536
	;; [unrolled: 1-line block ×3, first 2 shown]
	s_wait_loadcnt_dscnt 0x303
	v_mul_f64_e32 v[96:97], v[82:83], v[18:19]
	v_mul_f64_e32 v[98:99], v[80:81], v[18:19]
	v_fma_f64 v[76:77], v[76:77], v[0:1], -v[106:107]
	v_fma_f64 v[78:79], v[78:79], v[0:1], v[108:109]
	s_wait_loadcnt_dscnt 0x202
	v_mul_f64_e32 v[110:111], v[62:63], v[14:15]
	v_mul_f64_e32 v[112:113], v[60:61], v[14:15]
	s_wait_loadcnt_dscnt 0x101
	v_mul_f64_e32 v[114:115], v[66:67], v[10:11]
	s_wait_loadcnt_dscnt 0x0
	v_mul_f64_e32 v[116:117], v[70:71], v[6:7]
	v_mul_f64_e32 v[118:119], v[64:65], v[10:11]
	v_mul_f64_e32 v[120:121], v[68:69], v[6:7]
	v_add_f64_e64 v[130:131], v[84:85], -v[88:89]
	v_add_f64_e64 v[134:135], v[88:89], -v[84:85]
	v_add_f64_e32 v[106:107], v[90:91], v[92:93]
	v_add_f64_e32 v[108:109], v[86:87], v[74:75]
	;; [unrolled: 1-line block ×4, first 2 shown]
	v_add_f64_e64 v[132:133], v[72:73], -v[94:95]
	v_fma_f64 v[80:81], v[80:81], v[16:17], -v[96:97]
	v_fma_f64 v[82:83], v[82:83], v[16:17], v[98:99]
	v_add_f64_e64 v[136:137], v[94:95], -v[72:73]
	v_add_f64_e64 v[138:139], v[86:87], -v[90:91]
	;; [unrolled: 1-line block ×5, first 2 shown]
	v_fma_f64 v[96:97], v[60:61], v[12:13], -v[110:111]
	v_fma_f64 v[98:99], v[62:63], v[12:13], v[112:113]
	v_fma_f64 v[64:65], v[64:65], v[8:9], -v[114:115]
	v_fma_f64 v[68:69], v[68:69], v[4:5], -v[116:117]
	v_fma_f64 v[66:67], v[66:67], v[8:9], v[118:119]
	v_fma_f64 v[70:71], v[70:71], v[4:5], v[120:121]
	v_add_f64_e64 v[110:111], v[86:87], -v[74:75]
	v_add_f64_e64 v[112:113], v[90:91], -v[92:93]
	;; [unrolled: 1-line block ×4, first 2 shown]
	ds_load_b128 v[60:63], v104
	v_fma_f64 v[106:107], v[106:107], -0.5, v[78:79]
	v_fma_f64 v[108:109], v[108:109], -0.5, v[78:79]
	;; [unrolled: 1-line block ×4, first 2 shown]
	v_add_f64_e32 v[76:77], v[76:77], v[84:85]
	v_add_f64_e32 v[78:79], v[78:79], v[86:87]
	s_wait_dscnt 0x0
	v_add_f64_e32 v[154:155], v[60:61], v[80:81]
	v_add_f64_e32 v[160:161], v[62:63], v[82:83]
	;; [unrolled: 1-line block ×6, first 2 shown]
	v_add_f64_e64 v[156:157], v[82:83], -v[70:71]
	v_add_f64_e64 v[158:159], v[98:99], -v[66:67]
	;; [unrolled: 1-line block ×4, first 2 shown]
	v_fma_f64 v[146:147], v[114:115], s[4:5], v[106:107]
	v_fma_f64 v[148:149], v[116:117], s[6:7], v[108:109]
	;; [unrolled: 1-line block ×8, first 2 shown]
	v_add_f64_e32 v[76:77], v[76:77], v[88:89]
	v_add_f64_e32 v[78:79], v[78:79], v[90:91]
	v_fma_f64 v[84:85], v[122:123], -0.5, v[60:61]
	v_fma_f64 v[60:61], v[124:125], -0.5, v[60:61]
	;; [unrolled: 1-line block ×4, first 2 shown]
	v_add_f64_e32 v[122:123], v[130:131], v[132:133]
	v_add_f64_e32 v[124:125], v[134:135], v[136:137]
	v_add_f64_e32 v[126:127], v[138:139], v[140:141]
	v_add_f64_e32 v[128:129], v[142:143], v[144:145]
	v_add_f64_e64 v[138:139], v[70:71], -v[66:67]
	v_add_f64_e64 v[140:141], v[66:67], -v[70:71]
	s_wait_alu 0xfffe
	v_fma_f64 v[130:131], v[116:117], s[10:11], v[146:147]
	v_fma_f64 v[132:133], v[114:115], s[10:11], v[148:149]
	;; [unrolled: 1-line block ×8, first 2 shown]
	v_add_f64_e64 v[114:115], v[80:81], -v[96:97]
	v_add_f64_e64 v[116:117], v[68:69], -v[64:65]
	;; [unrolled: 1-line block ×6, first 2 shown]
	v_add_f64_e32 v[96:97], v[154:155], v[96:97]
	v_add_f64_e32 v[98:99], v[160:161], v[98:99]
	;; [unrolled: 1-line block ×4, first 2 shown]
	v_fma_f64 v[88:89], v[156:157], s[6:7], v[84:85]
	v_fma_f64 v[84:85], v[156:157], s[4:5], v[84:85]
	;; [unrolled: 1-line block ×16, first 2 shown]
	v_add_f64_e32 v[114:115], v[114:115], v[116:117]
	v_add_f64_e32 v[80:81], v[80:81], v[118:119]
	;; [unrolled: 1-line block ×6, first 2 shown]
	v_fma_f64 v[88:89], v[158:159], s[14:15], v[88:89]
	v_fma_f64 v[84:85], v[158:159], s[10:11], v[84:85]
	;; [unrolled: 1-line block ×8, first 2 shown]
	v_mul_f64_e32 v[96:97], s[14:15], v[130:131]
	v_mul_f64_e32 v[98:99], s[6:7], v[132:133]
	;; [unrolled: 1-line block ×8, first 2 shown]
	v_add_f64_e32 v[64:65], v[64:65], v[68:69]
	v_add_f64_e32 v[66:67], v[66:67], v[70:71]
	v_add_f64_e32 v[68:69], v[76:77], v[72:73]
	v_add_f64_e32 v[70:71], v[78:79], v[74:75]
	v_fma_f64 v[88:89], v[114:115], s[16:17], v[88:89]
	v_fma_f64 v[114:115], v[114:115], s[16:17], v[84:85]
	;; [unrolled: 1-line block ×10, first 2 shown]
	v_fma_f64 v[92:93], v[108:109], s[6:7], -v[118:119]
	v_fma_f64 v[96:97], v[106:107], s[14:15], -v[120:121]
	v_fma_f64 v[98:99], v[130:131], s[18:19], v[122:123]
	v_fma_f64 v[106:107], v[132:133], s[16:17], v[124:125]
	v_fma_f64 v[108:109], v[134:135], s[4:5], -v[126:127]
	v_fma_f64 v[110:111], v[136:137], s[10:11], -v[128:129]
	v_add_f64_e32 v[60:61], v[64:65], v[68:69]
	v_add_f64_e32 v[62:63], v[66:67], v[70:71]
	v_add_f64_e64 v[76:77], v[64:65], -v[68:69]
	v_add_f64_e64 v[78:79], v[66:67], -v[70:71]
	v_add_f64_e32 v[64:65], v[88:89], v[84:85]
	v_add_f64_e32 v[68:69], v[90:91], v[86:87]
	;; [unrolled: 1-line block ×8, first 2 shown]
	v_add_f64_e64 v[84:85], v[88:89], -v[84:85]
	v_add_f64_e64 v[88:89], v[90:91], -v[86:87]
	;; [unrolled: 1-line block ×8, first 2 shown]
	ds_store_b128 v104, v[60:63]
	ds_store_b128 v104, v[64:67] offset:256
	ds_store_b128 v105, v[68:71] offset:512
	;; [unrolled: 1-line block ×9, first 2 shown]
	global_wb scope:SCOPE_SE
	s_wait_dscnt 0x0
	s_barrier_signal -1
	s_barrier_wait -1
	global_inv scope:SCOPE_SE
	s_and_saveexec_b32 s6, vcc_lo
	s_cbranch_execz .LBB0_9
; %bb.8:
	global_load_b128 v[106:109], v101, s[8:9] offset:2560
	ds_load_b128 v[110:113], v104
	s_add_nc_u64 s[4:5], s[8:9], 0xa00
	s_wait_loadcnt_dscnt 0x0
	v_mul_f64_e32 v[114:115], v[112:113], v[108:109]
	v_mul_f64_e32 v[116:117], v[110:111], v[108:109]
	s_delay_alu instid0(VALU_DEP_2) | instskip(NEXT) | instid1(VALU_DEP_2)
	v_fma_f64 v[108:109], v[110:111], v[106:107], -v[114:115]
	v_fma_f64 v[110:111], v[112:113], v[106:107], v[116:117]
	global_load_b128 v[112:115], v101, s[4:5] offset:160
	ds_store_b128 v104, v[108:111]
	ds_load_b128 v[106:109], v105 offset:160
	ds_load_b128 v[126:129], v105 offset:640
	;; [unrolled: 1-line block ×13, first 2 shown]
	s_wait_loadcnt_dscnt 0xc
	v_mul_f64_e32 v[110:111], v[108:109], v[114:115]
	v_mul_f64_e32 v[114:115], v[106:107], v[114:115]
	s_delay_alu instid0(VALU_DEP_2) | instskip(NEXT) | instid1(VALU_DEP_2)
	v_fma_f64 v[106:107], v[106:107], v[112:113], -v[110:111]
	v_fma_f64 v[108:109], v[108:109], v[112:113], v[114:115]
	global_load_b128 v[110:113], v101, s[4:5] offset:320
	ds_load_b128 v[114:117], v105 offset:320
	s_wait_loadcnt_dscnt 0x0
	v_mul_f64_e32 v[118:119], v[116:117], v[112:113]
	v_mul_f64_e32 v[120:121], v[114:115], v[112:113]
	s_delay_alu instid0(VALU_DEP_2) | instskip(NEXT) | instid1(VALU_DEP_2)
	v_fma_f64 v[112:113], v[114:115], v[110:111], -v[118:119]
	v_fma_f64 v[114:115], v[116:117], v[110:111], v[120:121]
	global_load_b128 v[116:119], v101, s[4:5] offset:480
	ds_load_b128 v[120:123], v105 offset:480
	s_wait_loadcnt_dscnt 0x0
	v_mul_f64_e32 v[110:111], v[122:123], v[118:119]
	v_mul_f64_e32 v[124:125], v[120:121], v[118:119]
	s_delay_alu instid0(VALU_DEP_2) | instskip(NEXT) | instid1(VALU_DEP_2)
	v_fma_f64 v[118:119], v[120:121], v[116:117], -v[110:111]
	v_fma_f64 v[120:121], v[122:123], v[116:117], v[124:125]
	global_load_b128 v[122:125], v101, s[4:5] offset:640
	s_wait_loadcnt 0x0
	v_mul_f64_e32 v[110:111], v[128:129], v[124:125]
	v_mul_f64_e32 v[116:117], v[126:127], v[124:125]
	s_delay_alu instid0(VALU_DEP_2) | instskip(NEXT) | instid1(VALU_DEP_2)
	v_fma_f64 v[124:125], v[126:127], v[122:123], -v[110:111]
	v_fma_f64 v[126:127], v[128:129], v[122:123], v[116:117]
	global_load_b128 v[128:131], v101, s[4:5] offset:800
	s_wait_loadcnt 0x0
	;; [unrolled: 7-line block ×12, first 2 shown]
	v_mul_f64_e32 v[110:111], v[194:195], v[190:191]
	v_mul_f64_e32 v[116:117], v[192:193], v[190:191]
	s_delay_alu instid0(VALU_DEP_2) | instskip(NEXT) | instid1(VALU_DEP_2)
	v_fma_f64 v[190:191], v[192:193], v[188:189], -v[110:111]
	v_fma_f64 v[192:193], v[194:195], v[188:189], v[116:117]
	ds_store_b128 v105, v[106:109] offset:160
	ds_store_b128 v105, v[112:115] offset:320
	;; [unrolled: 1-line block ×15, first 2 shown]
.LBB0_9:
	s_wait_alu 0xfffe
	s_or_b32 exec_lo, exec_lo, s6
	global_wb scope:SCOPE_SE
	s_wait_dscnt 0x0
	s_barrier_signal -1
	s_barrier_wait -1
	global_inv scope:SCOPE_SE
	s_and_saveexec_b32 s4, vcc_lo
	s_cbranch_execz .LBB0_11
; %bb.10:
	ds_load_b128 v[60:63], v104
	ds_load_b128 v[64:67], v105 offset:160
	ds_load_b128 v[68:71], v105 offset:320
	;; [unrolled: 1-line block ×15, first 2 shown]
.LBB0_11:
	s_wait_alu 0xfffe
	s_or_b32 exec_lo, exec_lo, s4
	global_wb scope:SCOPE_SE
	s_wait_dscnt 0x0
	s_barrier_signal -1
	s_barrier_wait -1
	global_inv scope:SCOPE_SE
	s_and_saveexec_b32 s10, vcc_lo
	s_cbranch_execz .LBB0_13
; %bb.12:
	v_add_f64_e64 v[46:47], v[70:71], -v[46:47]
	v_add_f64_e64 v[56:57], v[84:85], -v[56:57]
	;; [unrolled: 1-line block ×16, first 2 shown]
	s_mov_b32 s4, 0x667f3bcd
	s_mov_b32 s5, 0x3fe6a09e
	;; [unrolled: 1-line block ×3, first 2 shown]
	s_wait_alu 0xfffe
	s_mov_b32 s6, s4
	s_mov_b32 s14, 0xcf328d46
	;; [unrolled: 1-line block ×6, first 2 shown]
	s_wait_alu 0xfffe
	s_mov_b32 s18, s16
	s_mov_b32 s21, 0xbfed906b
	;; [unrolled: 1-line block ×3, first 2 shown]
	v_add_lshl_u32 v103, v103, v101, 4
	v_fma_f64 v[70:71], v[70:71], 2.0, -v[46:47]
	v_add_f64_e64 v[108:109], v[46:47], -v[56:57]
	v_fma_f64 v[62:63], v[62:63], 2.0, -v[94:95]
	v_add_f64_e64 v[106:107], v[94:95], -v[36:37]
	v_fma_f64 v[56:57], v[84:85], 2.0, -v[56:57]
	v_add_f64_e32 v[110:111], v[58:59], v[44:45]
	v_fma_f64 v[68:69], v[68:69], 2.0, -v[44:45]
	v_add_f64_e64 v[114:115], v[42:43], -v[52:53]
	v_fma_f64 v[58:59], v[86:87], 2.0, -v[58:59]
	v_add_f64_e64 v[112:113], v[98:99], -v[48:49]
	v_fma_f64 v[48:49], v[76:77], 2.0, -v[48:49]
	v_add_f64_e32 v[116:117], v[54:55], v[40:41]
	v_fma_f64 v[72:73], v[72:73], 2.0, -v[40:41]
	v_add_f64_e32 v[118:119], v[50:51], v[96:97]
	;; [unrolled: 2-line block ×3, first 2 shown]
	v_fma_f64 v[38:39], v[82:83], 2.0, -v[38:39]
	v_fma_f64 v[52:53], v[88:89], 2.0, -v[52:53]
	;; [unrolled: 1-line block ×10, first 2 shown]
	v_fma_f64 v[84:85], v[108:109], s[4:5], v[106:107]
	v_fma_f64 v[44:45], v[44:45], 2.0, -v[110:111]
	v_add_f64_e64 v[56:57], v[68:69], -v[56:57]
	v_fma_f64 v[42:43], v[42:43], 2.0, -v[114:115]
	v_add_f64_e64 v[58:59], v[70:71], -v[58:59]
	v_fma_f64 v[78:79], v[98:99], 2.0, -v[112:113]
	v_fma_f64 v[86:87], v[114:115], s[4:5], v[112:113]
	v_fma_f64 v[40:41], v[40:41], 2.0, -v[116:117]
	v_fma_f64 v[80:81], v[96:97], 2.0, -v[118:119]
	v_add_f64_e64 v[48:49], v[64:65], -v[48:49]
	v_fma_f64 v[82:83], v[92:93], 2.0, -v[120:121]
	v_add_f64_e64 v[38:39], v[62:63], -v[38:39]
	v_add_f64_e64 v[52:53], v[72:73], -v[52:53]
	v_fma_f64 v[88:89], v[116:117], s[4:5], v[118:119]
	v_fma_f64 v[90:91], v[110:111], s[4:5], v[120:121]
	v_add_f64_e64 v[50:51], v[66:67], -v[50:51]
	v_add_f64_e64 v[54:55], v[74:75], -v[54:55]
	;; [unrolled: 1-line block ×3, first 2 shown]
	v_fma_f64 v[92:93], v[46:47], s[6:7], v[76:77]
	v_fma_f64 v[84:85], v[110:111], s[6:7], v[84:85]
	v_fma_f64 v[70:71], v[70:71], 2.0, -v[58:59]
	v_fma_f64 v[94:95], v[42:43], s[6:7], v[78:79]
	v_fma_f64 v[86:87], v[116:117], s[6:7], v[86:87]
	;; [unrolled: 1-line block ×3, first 2 shown]
	v_fma_f64 v[64:65], v[64:65], 2.0, -v[48:49]
	v_fma_f64 v[98:99], v[44:45], s[6:7], v[82:83]
	v_fma_f64 v[62:63], v[62:63], 2.0, -v[38:39]
	v_fma_f64 v[72:73], v[72:73], 2.0, -v[52:53]
	v_fma_f64 v[88:89], v[114:115], s[4:5], v[88:89]
	v_fma_f64 v[90:91], v[108:109], s[4:5], v[90:91]
	v_add_f64_e64 v[108:109], v[38:39], -v[56:57]
	v_add_f64_e64 v[52:53], v[50:51], -v[52:53]
	v_add_f64_e32 v[110:111], v[54:55], v[48:49]
	v_add_f64_e32 v[114:115], v[36:37], v[58:59]
	v_fma_f64 v[58:59], v[60:61], 2.0, -v[36:37]
	v_fma_f64 v[56:57], v[68:69], 2.0, -v[56:57]
	;; [unrolled: 1-line block ×4, first 2 shown]
	v_fma_f64 v[92:93], v[44:45], s[6:7], v[92:93]
	v_fma_f64 v[66:67], v[40:41], s[6:7], v[94:95]
	;; [unrolled: 1-line block ×4, first 2 shown]
	v_add_f64_e64 v[96:97], v[62:63], -v[70:71]
	v_fma_f64 v[98:99], v[106:107], 2.0, -v[84:85]
	v_fma_f64 v[70:71], v[112:113], 2.0, -v[86:87]
	v_add_f64_e64 v[44:45], v[64:65], -v[72:73]
	v_fma_f64 v[106:107], v[38:39], 2.0, -v[108:109]
	v_fma_f64 v[74:75], v[50:51], 2.0, -v[52:53]
	;; [unrolled: 1-line block ×6, first 2 shown]
	v_add_f64_e64 v[118:119], v[58:59], -v[56:57]
	v_add_f64_e64 v[50:51], v[60:61], -v[54:55]
	v_fma_f64 v[40:41], v[52:53], s[4:5], v[108:109]
	v_fma_f64 v[46:47], v[110:111], s[4:5], v[114:115]
	;; [unrolled: 1-line block ×4, first 2 shown]
	v_fma_f64 v[120:121], v[76:77], 2.0, -v[92:93]
	v_fma_f64 v[76:77], v[78:79], 2.0, -v[66:67]
	s_wait_alu 0xfffe
	v_fma_f64 v[56:57], v[66:67], s[18:19], v[92:93]
	v_fma_f64 v[78:79], v[80:81], 2.0, -v[68:69]
	v_fma_f64 v[122:123], v[82:83], 2.0, -v[94:95]
	v_fma_f64 v[80:81], v[68:69], s[18:19], v[94:95]
	v_fma_f64 v[130:131], v[62:63], 2.0, -v[96:97]
	v_fma_f64 v[82:83], v[70:71], s[16:17], v[98:99]
	;; [unrolled: 2-line block ×3, first 2 shown]
	v_fma_f64 v[126:127], v[48:49], s[6:7], v[112:113]
	v_fma_f64 v[128:129], v[72:73], s[16:17], v[116:117]
	v_fma_f64 v[132:133], v[58:59], 2.0, -v[118:119]
	v_fma_f64 v[60:61], v[60:61], 2.0, -v[50:51]
	v_fma_f64 v[42:43], v[110:111], s[6:7], v[40:41]
	v_fma_f64 v[40:41], v[52:53], s[4:5], v[46:47]
	;; [unrolled: 1-line block ×4, first 2 shown]
	v_add_f64_e64 v[46:47], v[96:97], -v[44:45]
	v_add_f64_e32 v[44:45], v[118:119], v[50:51]
	v_fma_f64 v[134:135], v[76:77], s[20:21], v[120:121]
	v_fma_f64 v[58:59], v[68:69], s[20:21], v[56:57]
	;; [unrolled: 1-line block ×8, first 2 shown]
	v_add_f64_e64 v[62:63], v[130:131], -v[60:61]
	v_add_f64_e64 v[60:61], v[132:133], -v[64:65]
	v_fma_f64 v[74:75], v[108:109], 2.0, -v[42:43]
	v_fma_f64 v[72:73], v[114:115], 2.0, -v[40:41]
	;; [unrolled: 1-line block ×4, first 2 shown]
	v_fma_f64 v[66:67], v[78:79], s[16:17], v[134:135]
	v_fma_f64 v[78:79], v[96:97], 2.0, -v[46:47]
	v_fma_f64 v[90:91], v[92:93], 2.0, -v[58:59]
	v_fma_f64 v[64:65], v[76:77], s[18:19], v[136:137]
	v_fma_f64 v[76:77], v[118:119], 2.0, -v[44:45]
	v_fma_f64 v[88:89], v[94:95], 2.0, -v[56:57]
	;; [unrolled: 1-line block ×10, first 2 shown]
	ds_store_b128 v103, v[72:75] offset:96
	ds_store_b128 v103, v[68:71] offset:112
	;; [unrolled: 1-line block ×12, first 2 shown]
	ds_store_b128 v103, v[92:95]
	ds_store_b128 v103, v[96:99] offset:16
	ds_store_b128 v103, v[40:43] offset:224
	;; [unrolled: 1-line block ×3, first 2 shown]
.LBB0_13:
	s_wait_alu 0xfffe
	s_or_b32 exec_lo, exec_lo, s10
	global_wb scope:SCOPE_SE
	s_wait_dscnt 0x0
	s_barrier_signal -1
	s_barrier_wait -1
	global_inv scope:SCOPE_SE
	ds_load_b128 v[36:39], v104 offset:768
	ds_load_b128 v[40:43], v104 offset:1280
	;; [unrolled: 1-line block ×6, first 2 shown]
	s_mov_b32 s10, 0x134454ff
	s_mov_b32 s11, 0xbfee6f0e
	;; [unrolled: 1-line block ×3, first 2 shown]
	s_wait_alu 0xfffe
	s_mov_b32 s4, s10
	s_mov_b32 s16, 0x4755a5e
	;; [unrolled: 1-line block ×4, first 2 shown]
	s_wait_alu 0xfffe
	s_mov_b32 s6, s16
	s_mov_b32 s14, 0x372fe950
	;; [unrolled: 1-line block ×6, first 2 shown]
	s_wait_alu 0xfffe
	s_mov_b32 s20, s14
	s_mov_b32 s23, 0xbfe9e377
	s_wait_dscnt 0x5
	v_mul_f64_e32 v[60:61], v[22:23], v[36:37]
	s_wait_dscnt 0x4
	v_mul_f64_e32 v[62:63], v[30:31], v[40:41]
	;; [unrolled: 2-line block ×5, first 2 shown]
	v_mul_f64_e32 v[22:23], v[22:23], v[38:39]
	v_mul_f64_e32 v[30:31], v[30:31], v[42:43]
	;; [unrolled: 1-line block ×4, first 2 shown]
	s_wait_dscnt 0x0
	v_mul_f64_e32 v[74:75], v[18:19], v[58:59]
	v_mul_f64_e32 v[18:19], v[18:19], v[56:57]
	;; [unrolled: 1-line block ×3, first 2 shown]
	s_mov_b32 s22, s18
	v_fma_f64 v[38:39], v[20:21], v[38:39], -v[60:61]
	v_fma_f64 v[42:43], v[28:29], v[42:43], -v[62:63]
	;; [unrolled: 1-line block ×4, first 2 shown]
	ds_load_b128 v[60:63], v104 offset:1024
	ds_load_b128 v[64:67], v104 offset:1536
	;; [unrolled: 1-line block ×3, first 2 shown]
	v_fma_f64 v[20:21], v[20:21], v[36:37], v[22:23]
	v_fma_f64 v[22:23], v[28:29], v[40:41], v[30:31]
	;; [unrolled: 1-line block ×4, first 2 shown]
	v_fma_f64 v[28:29], v[0:1], v[54:55], -v[72:73]
	v_fma_f64 v[34:35], v[16:17], v[56:57], v[74:75]
	v_fma_f64 v[16:17], v[16:17], v[58:59], -v[18:19]
	s_wait_dscnt 0x2
	v_mul_f64_e32 v[76:77], v[14:15], v[62:63]
	v_mul_f64_e32 v[14:15], v[14:15], v[60:61]
	s_wait_dscnt 0x1
	v_mul_f64_e32 v[78:79], v[10:11], v[66:67]
	s_wait_dscnt 0x0
	v_mul_f64_e32 v[80:81], v[6:7], v[70:71]
	v_mul_f64_e32 v[10:11], v[10:11], v[64:65]
	;; [unrolled: 1-line block ×3, first 2 shown]
	v_add_f64_e32 v[30:31], v[42:43], v[46:47]
	v_add_f64_e32 v[32:33], v[38:39], v[50:51]
	v_add_f64_e64 v[84:85], v[20:21], -v[22:23]
	v_add_f64_e64 v[48:49], v[22:23], -v[24:25]
	v_add_f64_e32 v[40:41], v[20:21], v[26:27]
	v_add_f64_e64 v[44:45], v[20:21], -v[26:27]
	v_add_f64_e64 v[86:87], v[26:27], -v[24:25]
	;; [unrolled: 1-line block ×3, first 2 shown]
	v_fma_f64 v[18:19], v[12:13], v[60:61], v[76:77]
	v_fma_f64 v[12:13], v[12:13], v[62:63], -v[14:15]
	v_fma_f64 v[14:15], v[8:9], v[64:65], v[78:79]
	v_fma_f64 v[36:37], v[4:5], v[68:69], v[80:81]
	v_fma_f64 v[8:9], v[8:9], v[66:67], -v[10:11]
	v_fma_f64 v[4:5], v[4:5], v[70:71], -v[6:7]
	v_fma_f64 v[6:7], v[0:1], v[52:53], v[2:3]
	v_add_f64_e32 v[10:11], v[22:23], v[24:25]
	v_add_f64_e64 v[60:61], v[38:39], -v[50:51]
	v_add_f64_e64 v[62:63], v[38:39], -v[42:43]
	;; [unrolled: 1-line block ×6, first 2 shown]
	ds_load_b128 v[0:3], v104
	v_fma_f64 v[30:31], v[30:31], -0.5, v[28:29]
	v_fma_f64 v[32:33], v[32:33], -0.5, v[28:29]
	v_add_f64_e32 v[28:29], v[28:29], v[38:39]
	s_wait_dscnt 0x0
	v_add_f64_e32 v[76:77], v[0:1], v[34:35]
	v_add_f64_e32 v[82:83], v[2:3], v[16:17]
	v_add_f64_e64 v[90:91], v[16:17], -v[12:13]
	v_add_f64_e32 v[52:53], v[18:19], v[14:15]
	v_add_f64_e32 v[54:55], v[34:35], v[36:37]
	;; [unrolled: 1-line block ×4, first 2 shown]
	v_fma_f64 v[40:41], v[40:41], -0.5, v[6:7]
	v_fma_f64 v[10:11], v[10:11], -0.5, v[6:7]
	v_add_f64_e32 v[6:7], v[6:7], v[20:21]
	v_add_f64_e64 v[78:79], v[16:17], -v[4:5]
	v_add_f64_e64 v[20:21], v[22:23], -v[20:21]
	;; [unrolled: 1-line block ×6, first 2 shown]
	v_fma_f64 v[72:73], v[44:45], s[4:5], v[30:31]
	v_fma_f64 v[74:75], v[48:49], s[10:11], v[32:33]
	;; [unrolled: 1-line block ×4, first 2 shown]
	v_add_f64_e32 v[28:29], v[28:29], v[42:43]
	v_add_f64_e32 v[12:13], v[82:83], v[12:13]
	v_fma_f64 v[38:39], v[52:53], -0.5, v[0:1]
	v_add_f64_e64 v[52:53], v[34:35], -v[36:37]
	v_fma_f64 v[0:1], v[54:55], -0.5, v[0:1]
	v_add_f64_e64 v[54:55], v[18:19], -v[14:15]
	v_fma_f64 v[56:57], v[56:57], -0.5, v[2:3]
	v_fma_f64 v[2:3], v[58:59], -0.5, v[2:3]
	v_add_f64_e32 v[58:59], v[62:63], v[64:65]
	v_add_f64_e32 v[62:63], v[66:67], v[68:69]
	v_fma_f64 v[64:65], v[60:61], s[10:11], v[10:11]
	v_fma_f64 v[10:11], v[60:61], s[4:5], v[10:11]
	;; [unrolled: 1-line block ×4, first 2 shown]
	v_add_f64_e32 v[6:7], v[6:7], v[22:23]
	v_add_f64_e32 v[22:23], v[84:85], v[86:87]
	;; [unrolled: 1-line block ×4, first 2 shown]
	v_fma_f64 v[68:69], v[48:49], s[6:7], v[72:73]
	v_fma_f64 v[72:73], v[44:45], s[6:7], v[74:75]
	;; [unrolled: 1-line block ×4, first 2 shown]
	v_add_f64_e64 v[44:45], v[34:35], -v[18:19]
	v_add_f64_e64 v[34:35], v[18:19], -v[34:35]
	v_add_f64_e32 v[18:19], v[76:77], v[18:19]
	v_add_f64_e64 v[48:49], v[36:37], -v[14:15]
	v_add_f64_e64 v[74:75], v[14:15], -v[36:37]
	v_add_f64_e32 v[8:9], v[12:13], v[8:9]
	v_add_f64_e32 v[12:13], v[28:29], v[46:47]
	v_fma_f64 v[42:43], v[78:79], s[10:11], v[38:39]
	v_fma_f64 v[38:39], v[78:79], s[4:5], v[38:39]
	;; [unrolled: 1-line block ×12, first 2 shown]
	v_add_f64_e32 v[6:7], v[6:7], v[24:25]
	v_fma_f64 v[60:61], v[58:59], s[14:15], v[68:69]
	v_fma_f64 v[68:69], v[62:63], s[14:15], v[72:73]
	;; [unrolled: 1-line block ×4, first 2 shown]
	v_add_f64_e32 v[14:15], v[18:19], v[14:15]
	v_add_f64_e32 v[44:45], v[44:45], v[48:49]
	v_add_f64_e32 v[48:49], v[90:91], v[92:93]
	v_add_f64_e32 v[34:35], v[34:35], v[74:75]
	v_add_f64_e32 v[8:9], v[8:9], v[4:5]
	v_fma_f64 v[18:19], v[80:81], s[16:17], v[42:43]
	v_fma_f64 v[24:25], v[80:81], s[6:7], v[38:39]
	;; [unrolled: 1-line block ×12, first 2 shown]
	v_add_f64_e32 v[4:5], v[6:7], v[26:27]
	v_add_f64_e32 v[6:7], v[12:13], v[50:51]
	v_mul_f64_e32 v[40:41], s[16:17], v[60:61]
	v_mul_f64_e32 v[60:61], s[18:19], v[60:61]
	;; [unrolled: 1-line block ×5, first 2 shown]
	s_wait_alu 0xfffe
	v_mul_f64_e32 v[32:33], s[20:21], v[32:33]
	v_mul_f64_e32 v[58:59], s[16:17], v[30:31]
	;; [unrolled: 1-line block ×3, first 2 shown]
	v_add_f64_e32 v[14:15], v[14:15], v[36:37]
	v_fma_f64 v[26:27], v[44:45], s[14:15], v[18:19]
	v_fma_f64 v[36:37], v[44:45], s[14:15], v[24:25]
	;; [unrolled: 1-line block ×8, first 2 shown]
	v_add_f64_e32 v[2:3], v[8:9], v[6:7]
	v_add_f64_e64 v[6:7], v[8:9], -v[6:7]
	v_fma_f64 v[24:25], v[52:53], s[18:19], v[40:41]
	v_fma_f64 v[52:53], v[52:53], s[6:7], v[60:61]
	;; [unrolled: 1-line block ×8, first 2 shown]
	v_add_f64_e32 v[0:1], v[14:15], v[4:5]
	v_add_f64_e64 v[4:5], v[14:15], -v[4:5]
	v_add_f64_e32 v[8:9], v[26:27], v[24:25]
	v_add_f64_e32 v[10:11], v[38:39], v[52:53]
	;; [unrolled: 1-line block ×8, first 2 shown]
	v_add_f64_e64 v[24:25], v[26:27], -v[24:25]
	v_add_f64_e64 v[26:27], v[38:39], -v[52:53]
	;; [unrolled: 1-line block ×8, first 2 shown]
	ds_store_b128 v104, v[0:3]
	ds_store_b128 v104, v[8:11] offset:256
	ds_store_b128 v105, v[12:15] offset:512
	;; [unrolled: 1-line block ×9, first 2 shown]
	global_wb scope:SCOPE_SE
	s_wait_dscnt 0x0
	s_barrier_signal -1
	s_barrier_wait -1
	global_inv scope:SCOPE_SE
	s_and_b32 exec_lo, exec_lo, vcc_lo
	s_cbranch_execz .LBB0_15
; %bb.14:
	s_clause 0xb
	global_load_b128 v[0:3], v101, s[8:9]
	global_load_b128 v[4:7], v101, s[8:9] offset:160
	global_load_b128 v[8:11], v101, s[8:9] offset:320
	;; [unrolled: 1-line block ×11, first 2 shown]
	v_mad_co_u64_u32 v[80:81], null, s2, v100, 0
	v_mad_co_u64_u32 v[96:97], null, s0, v102, 0
	s_delay_alu instid0(VALU_DEP_2) | instskip(NEXT) | instid1(VALU_DEP_2)
	v_mov_b32_e32 v48, v81
	v_mov_b32_e32 v56, v97
	s_delay_alu instid0(VALU_DEP_2)
	v_mad_co_u64_u32 v[64:65], null, s3, v100, v[48:49]
	ds_load_b128 v[48:51], v104
	ds_load_b128 v[52:55], v105 offset:160
	v_mad_co_u64_u32 v[82:83], null, s1, v102, v[56:57]
	ds_load_b128 v[56:59], v105 offset:320
	ds_load_b128 v[60:63], v105 offset:480
	s_mul_u64 s[0:1], s[0:1], 0xa0
	s_mov_b32 s2, 0x9999999a
	v_mov_b32_e32 v81, v64
	ds_load_b128 v[64:67], v105 offset:640
	ds_load_b128 v[68:71], v105 offset:800
	;; [unrolled: 1-line block ×4, first 2 shown]
	s_mov_b32 s3, 0x3f799999
	v_mov_b32_e32 v97, v82
	v_lshlrev_b64_e32 v[98:99], 4, v[80:81]
	ds_load_b128 v[80:83], v105 offset:1280
	ds_load_b128 v[84:87], v105 offset:1440
	;; [unrolled: 1-line block ×4, first 2 shown]
	v_lshlrev_b64_e32 v[96:97], 4, v[96:97]
	v_add_co_u32 v100, vcc_lo, s12, v98
	v_add_co_ci_u32_e32 v104, vcc_lo, s13, v99, vcc_lo
	s_delay_alu instid0(VALU_DEP_2) | instskip(SKIP_1) | instid1(VALU_DEP_2)
	v_add_co_u32 v96, vcc_lo, v100, v96
	s_wait_alu 0xfffd
	v_add_co_ci_u32_e32 v97, vcc_lo, v104, v97, vcc_lo
	s_wait_alu 0xfffe
	s_delay_alu instid0(VALU_DEP_2) | instskip(SKIP_1) | instid1(VALU_DEP_2)
	v_add_co_u32 v126, vcc_lo, v96, s0
	s_wait_alu 0xfffd
	v_add_co_ci_u32_e32 v127, vcc_lo, s1, v97, vcc_lo
	s_delay_alu instid0(VALU_DEP_2) | instskip(SKIP_1) | instid1(VALU_DEP_2)
	v_add_co_u32 v128, vcc_lo, v126, s0
	s_wait_alu 0xfffd
	v_add_co_ci_u32_e32 v129, vcc_lo, s1, v127, vcc_lo
	s_wait_loadcnt_dscnt 0xb0b
	v_mul_f64_e32 v[98:99], v[50:51], v[2:3]
	v_mul_f64_e32 v[2:3], v[48:49], v[2:3]
	s_wait_loadcnt_dscnt 0xa0a
	v_mul_f64_e32 v[102:103], v[54:55], v[6:7]
	v_mul_f64_e32 v[6:7], v[52:53], v[6:7]
	;; [unrolled: 3-line block ×12, first 2 shown]
	v_fma_f64 v[48:49], v[48:49], v[0:1], v[98:99]
	v_fma_f64 v[2:3], v[0:1], v[50:51], -v[2:3]
	v_fma_f64 v[50:51], v[52:53], v[4:5], v[102:103]
	v_fma_f64 v[6:7], v[4:5], v[54:55], -v[6:7]
	;; [unrolled: 2-line block ×12, first 2 shown]
	v_add_co_u32 v72, vcc_lo, v128, s0
	s_wait_alu 0xfffd
	v_add_co_ci_u32_e32 v73, vcc_lo, s1, v129, vcc_lo
	s_delay_alu instid0(VALU_DEP_2) | instskip(SKIP_1) | instid1(VALU_DEP_2)
	v_add_co_u32 v74, vcc_lo, v72, s0
	s_wait_alu 0xfffd
	v_add_co_ci_u32_e32 v75, vcc_lo, s1, v73, vcc_lo
	s_delay_alu instid0(VALU_DEP_2) | instskip(SKIP_1) | instid1(VALU_DEP_2)
	v_add_co_u32 v76, vcc_lo, v74, s0
	s_wait_alu 0xfffd
	v_add_co_ci_u32_e32 v77, vcc_lo, s1, v75, vcc_lo
	v_mul_f64_e32 v[0:1], s[2:3], v[48:49]
	v_mul_f64_e32 v[2:3], s[2:3], v[2:3]
	;; [unrolled: 1-line block ×24, first 2 shown]
	v_add_co_u32 v48, vcc_lo, v76, s0
	s_wait_alu 0xfffd
	v_add_co_ci_u32_e32 v49, vcc_lo, s1, v77, vcc_lo
	s_delay_alu instid0(VALU_DEP_2) | instskip(SKIP_1) | instid1(VALU_DEP_2)
	v_add_co_u32 v50, vcc_lo, v48, s0
	s_wait_alu 0xfffd
	v_add_co_ci_u32_e32 v51, vcc_lo, s1, v49, vcc_lo
	s_delay_alu instid0(VALU_DEP_2) | instskip(SKIP_1) | instid1(VALU_DEP_2)
	;; [unrolled: 4-line block ×5, first 2 shown]
	v_add_co_u32 v58, vcc_lo, v56, s0
	s_wait_alu 0xfffd
	v_add_co_ci_u32_e32 v59, vcc_lo, s1, v57, vcc_lo
	s_clause 0x4
	global_store_b128 v[96:97], v[0:3], off
	global_store_b128 v[126:127], v[4:7], off
	;; [unrolled: 1-line block ×12, first 2 shown]
	global_load_b128 v[0:3], v101, s[8:9] offset:1920
	ds_load_b128 v[4:7], v105 offset:1920
	ds_load_b128 v[8:11], v105 offset:2080
	s_wait_loadcnt_dscnt 0x1
	v_mul_f64_e32 v[12:13], v[6:7], v[2:3]
	v_mul_f64_e32 v[2:3], v[4:5], v[2:3]
	s_delay_alu instid0(VALU_DEP_2) | instskip(NEXT) | instid1(VALU_DEP_2)
	v_fma_f64 v[4:5], v[4:5], v[0:1], v[12:13]
	v_fma_f64 v[2:3], v[0:1], v[6:7], -v[2:3]
	s_delay_alu instid0(VALU_DEP_2) | instskip(NEXT) | instid1(VALU_DEP_2)
	v_mul_f64_e32 v[0:1], s[2:3], v[4:5]
	v_mul_f64_e32 v[2:3], s[2:3], v[2:3]
	v_add_co_u32 v4, vcc_lo, v58, s0
	s_wait_alu 0xfffd
	v_add_co_ci_u32_e32 v5, vcc_lo, s1, v59, vcc_lo
	s_delay_alu instid0(VALU_DEP_2) | instskip(SKIP_1) | instid1(VALU_DEP_2)
	v_add_co_u32 v12, vcc_lo, v4, s0
	s_wait_alu 0xfffd
	v_add_co_ci_u32_e32 v13, vcc_lo, s1, v5, vcc_lo
	global_store_b128 v[4:5], v[0:3], off
	global_load_b128 v[0:3], v101, s[8:9] offset:2080
	s_wait_loadcnt_dscnt 0x0
	v_mul_f64_e32 v[6:7], v[10:11], v[2:3]
	v_mul_f64_e32 v[2:3], v[8:9], v[2:3]
	s_delay_alu instid0(VALU_DEP_2) | instskip(NEXT) | instid1(VALU_DEP_2)
	v_fma_f64 v[6:7], v[8:9], v[0:1], v[6:7]
	v_fma_f64 v[2:3], v[0:1], v[10:11], -v[2:3]
	s_delay_alu instid0(VALU_DEP_2) | instskip(NEXT) | instid1(VALU_DEP_2)
	v_mul_f64_e32 v[0:1], s[2:3], v[6:7]
	v_mul_f64_e32 v[2:3], s[2:3], v[2:3]
	global_store_b128 v[12:13], v[0:3], off
	global_load_b128 v[0:3], v101, s[8:9] offset:2240
	ds_load_b128 v[4:7], v105 offset:2240
	ds_load_b128 v[8:11], v105 offset:2400
	s_wait_loadcnt_dscnt 0x1
	v_mul_f64_e32 v[14:15], v[6:7], v[2:3]
	v_mul_f64_e32 v[2:3], v[4:5], v[2:3]
	s_delay_alu instid0(VALU_DEP_2) | instskip(NEXT) | instid1(VALU_DEP_2)
	v_fma_f64 v[4:5], v[4:5], v[0:1], v[14:15]
	v_fma_f64 v[2:3], v[0:1], v[6:7], -v[2:3]
	s_delay_alu instid0(VALU_DEP_2) | instskip(NEXT) | instid1(VALU_DEP_2)
	v_mul_f64_e32 v[0:1], s[2:3], v[4:5]
	v_mul_f64_e32 v[2:3], s[2:3], v[2:3]
	v_add_co_u32 v4, vcc_lo, v12, s0
	s_wait_alu 0xfffd
	v_add_co_ci_u32_e32 v5, vcc_lo, s1, v13, vcc_lo
	global_store_b128 v[4:5], v[0:3], off
	global_load_b128 v[0:3], v101, s[8:9] offset:2400
	v_add_co_u32 v4, vcc_lo, v4, s0
	s_wait_alu 0xfffd
	v_add_co_ci_u32_e32 v5, vcc_lo, s1, v5, vcc_lo
	s_wait_loadcnt_dscnt 0x0
	v_mul_f64_e32 v[6:7], v[10:11], v[2:3]
	v_mul_f64_e32 v[2:3], v[8:9], v[2:3]
	s_delay_alu instid0(VALU_DEP_2) | instskip(NEXT) | instid1(VALU_DEP_2)
	v_fma_f64 v[6:7], v[8:9], v[0:1], v[6:7]
	v_fma_f64 v[2:3], v[0:1], v[10:11], -v[2:3]
	s_delay_alu instid0(VALU_DEP_2) | instskip(NEXT) | instid1(VALU_DEP_2)
	v_mul_f64_e32 v[0:1], s[2:3], v[6:7]
	v_mul_f64_e32 v[2:3], s[2:3], v[2:3]
	global_store_b128 v[4:5], v[0:3], off
.LBB0_15:
	s_nop 0
	s_sendmsg sendmsg(MSG_DEALLOC_VGPRS)
	s_endpgm
	.section	.rodata,"a",@progbits
	.p2align	6, 0x0
	.amdhsa_kernel bluestein_single_back_len160_dim1_dp_op_CI_CI
		.amdhsa_group_segment_fixed_size 40960
		.amdhsa_private_segment_fixed_size 0
		.amdhsa_kernarg_size 104
		.amdhsa_user_sgpr_count 2
		.amdhsa_user_sgpr_dispatch_ptr 0
		.amdhsa_user_sgpr_queue_ptr 0
		.amdhsa_user_sgpr_kernarg_segment_ptr 1
		.amdhsa_user_sgpr_dispatch_id 0
		.amdhsa_user_sgpr_private_segment_size 0
		.amdhsa_wavefront_size32 1
		.amdhsa_uses_dynamic_stack 0
		.amdhsa_enable_private_segment 0
		.amdhsa_system_sgpr_workgroup_id_x 1
		.amdhsa_system_sgpr_workgroup_id_y 0
		.amdhsa_system_sgpr_workgroup_id_z 0
		.amdhsa_system_sgpr_workgroup_info 0
		.amdhsa_system_vgpr_workitem_id 0
		.amdhsa_next_free_vgpr 196
		.amdhsa_next_free_sgpr 24
		.amdhsa_reserve_vcc 1
		.amdhsa_float_round_mode_32 0
		.amdhsa_float_round_mode_16_64 0
		.amdhsa_float_denorm_mode_32 3
		.amdhsa_float_denorm_mode_16_64 3
		.amdhsa_fp16_overflow 0
		.amdhsa_workgroup_processor_mode 1
		.amdhsa_memory_ordered 1
		.amdhsa_forward_progress 0
		.amdhsa_round_robin_scheduling 0
		.amdhsa_exception_fp_ieee_invalid_op 0
		.amdhsa_exception_fp_denorm_src 0
		.amdhsa_exception_fp_ieee_div_zero 0
		.amdhsa_exception_fp_ieee_overflow 0
		.amdhsa_exception_fp_ieee_underflow 0
		.amdhsa_exception_fp_ieee_inexact 0
		.amdhsa_exception_int_div_zero 0
	.end_amdhsa_kernel
	.text
.Lfunc_end0:
	.size	bluestein_single_back_len160_dim1_dp_op_CI_CI, .Lfunc_end0-bluestein_single_back_len160_dim1_dp_op_CI_CI
                                        ; -- End function
	.section	.AMDGPU.csdata,"",@progbits
; Kernel info:
; codeLenInByte = 10708
; NumSgprs: 26
; NumVgprs: 196
; ScratchSize: 0
; MemoryBound: 0
; FloatMode: 240
; IeeeMode: 1
; LDSByteSize: 40960 bytes/workgroup (compile time only)
; SGPRBlocks: 3
; VGPRBlocks: 24
; NumSGPRsForWavesPerEU: 26
; NumVGPRsForWavesPerEU: 196
; Occupancy: 6
; WaveLimiterHint : 1
; COMPUTE_PGM_RSRC2:SCRATCH_EN: 0
; COMPUTE_PGM_RSRC2:USER_SGPR: 2
; COMPUTE_PGM_RSRC2:TRAP_HANDLER: 0
; COMPUTE_PGM_RSRC2:TGID_X_EN: 1
; COMPUTE_PGM_RSRC2:TGID_Y_EN: 0
; COMPUTE_PGM_RSRC2:TGID_Z_EN: 0
; COMPUTE_PGM_RSRC2:TIDIG_COMP_CNT: 0
	.text
	.p2alignl 7, 3214868480
	.fill 96, 4, 3214868480
	.type	__hip_cuid_cc93df99ef1eb5f0,@object ; @__hip_cuid_cc93df99ef1eb5f0
	.section	.bss,"aw",@nobits
	.globl	__hip_cuid_cc93df99ef1eb5f0
__hip_cuid_cc93df99ef1eb5f0:
	.byte	0                               ; 0x0
	.size	__hip_cuid_cc93df99ef1eb5f0, 1

	.ident	"AMD clang version 19.0.0git (https://github.com/RadeonOpenCompute/llvm-project roc-6.4.0 25133 c7fe45cf4b819c5991fe208aaa96edf142730f1d)"
	.section	".note.GNU-stack","",@progbits
	.addrsig
	.addrsig_sym __hip_cuid_cc93df99ef1eb5f0
	.amdgpu_metadata
---
amdhsa.kernels:
  - .args:
      - .actual_access:  read_only
        .address_space:  global
        .offset:         0
        .size:           8
        .value_kind:     global_buffer
      - .actual_access:  read_only
        .address_space:  global
        .offset:         8
        .size:           8
        .value_kind:     global_buffer
      - .actual_access:  read_only
        .address_space:  global
        .offset:         16
        .size:           8
        .value_kind:     global_buffer
      - .actual_access:  read_only
        .address_space:  global
        .offset:         24
        .size:           8
        .value_kind:     global_buffer
      - .actual_access:  read_only
        .address_space:  global
        .offset:         32
        .size:           8
        .value_kind:     global_buffer
      - .offset:         40
        .size:           8
        .value_kind:     by_value
      - .address_space:  global
        .offset:         48
        .size:           8
        .value_kind:     global_buffer
      - .address_space:  global
        .offset:         56
        .size:           8
        .value_kind:     global_buffer
      - .address_space:  global
        .offset:         64
        .size:           8
        .value_kind:     global_buffer
      - .address_space:  global
        .offset:         72
        .size:           8
        .value_kind:     global_buffer
      - .offset:         80
        .size:           4
        .value_kind:     by_value
      - .address_space:  global
        .offset:         88
        .size:           8
        .value_kind:     global_buffer
      - .address_space:  global
        .offset:         96
        .size:           8
        .value_kind:     global_buffer
    .group_segment_fixed_size: 40960
    .kernarg_segment_align: 8
    .kernarg_segment_size: 104
    .language:       OpenCL C
    .language_version:
      - 2
      - 0
    .max_flat_workgroup_size: 256
    .name:           bluestein_single_back_len160_dim1_dp_op_CI_CI
    .private_segment_fixed_size: 0
    .sgpr_count:     26
    .sgpr_spill_count: 0
    .symbol:         bluestein_single_back_len160_dim1_dp_op_CI_CI.kd
    .uniform_work_group_size: 1
    .uses_dynamic_stack: false
    .vgpr_count:     196
    .vgpr_spill_count: 0
    .wavefront_size: 32
    .workgroup_processor_mode: 1
amdhsa.target:   amdgcn-amd-amdhsa--gfx1201
amdhsa.version:
  - 1
  - 2
...

	.end_amdgpu_metadata
